;; amdgpu-corpus repo=zjin-lcf/HeCBench kind=compiled arch=gfx90a opt=O3
	.text
	.amdgcn_target "amdgcn-amd-amdhsa--gfx90a"
	.amdhsa_code_object_version 6
	.protected	_Z8lb_keoghPKfS0_S0_PfS0_S0_ii ; -- Begin function _Z8lb_keoghPKfS0_S0_PfS0_S0_ii
	.globl	_Z8lb_keoghPKfS0_S0_PfS0_S0_ii
	.p2align	8
	.type	_Z8lb_keoghPKfS0_S0_PfS0_S0_ii,@function
_Z8lb_keoghPKfS0_S0_PfS0_S0_ii:         ; @_Z8lb_keoghPKfS0_S0_PfS0_S0_ii
; %bb.0:
	s_load_dword s0, s[4:5], 0x44
	s_load_dwordx4 s[16:19], s[4:5], 0x28
	s_load_dwordx8 s[8:15], s[4:5], 0x8
	s_waitcnt lgkmcnt(0)
	s_and_b32 s21, s0, 0xffff
	s_add_i32 s22, s21, s18
	s_mul_i32 s20, s6, s21
	v_cmp_gt_u32_e32 vcc, s22, v0
	s_and_saveexec_b64 s[0:1], vcc
	s_cbranch_execz .LBB0_5
; %bb.1:
	s_load_dwordx2 s[2:3], s[4:5], 0x0
	v_lshl_add_u32 v1, v0, 2, 0
	s_lshl_b32 s23, s21, 2
	s_mov_b64 s[4:5], 0
	v_mov_b32_e32 v4, v0
	s_branch .LBB0_3
.LBB0_2:                                ;   in Loop: Header=BB0_3 Depth=1
	s_or_b64 exec, exec, s[6:7]
	v_add_u32_e32 v4, s21, v4
	v_cmp_le_u32_e32 vcc, s22, v4
	s_or_b64 s[4:5], vcc, s[4:5]
	v_add_u32_e32 v1, s23, v1
	s_andn2_b64 exec, exec, s[4:5]
	s_cbranch_execz .LBB0_5
.LBB0_3:                                ; =>This Inner Loop Header: Depth=1
	v_add_u32_e32 v2, s20, v4
	v_cmp_gt_i32_e32 vcc, s19, v2
	s_and_saveexec_b64 s[6:7], vcc
	s_cbranch_execz .LBB0_2
; %bb.4:                                ;   in Loop: Header=BB0_3 Depth=1
	v_ashrrev_i32_e32 v3, 31, v2
	v_lshlrev_b64 v[2:3], 2, v[2:3]
	s_waitcnt lgkmcnt(0)
	v_mov_b32_e32 v5, s3
	v_add_co_u32_e32 v2, vcc, s2, v2
	v_addc_co_u32_e32 v3, vcc, v5, v3, vcc
	global_load_dword v2, v[2:3], off
	s_waitcnt vmcnt(0)
	ds_write_b32 v1, v2
	s_branch .LBB0_2
.LBB0_5:
	s_or_b64 exec, exec, s[0:1]
	v_add_u32_e32 v2, s20, v0
	s_sub_i32 s0, s19, s18
	v_cmp_ge_i32_e32 vcc, s0, v2
	s_waitcnt lgkmcnt(0)
	s_barrier
	s_and_saveexec_b64 s[0:1], vcc
	s_cbranch_execz .LBB0_16
; %bb.6:
	v_ashrrev_i32_e32 v3, 31, v2
	s_cmp_lt_i32 s18, 1
	v_lshlrev_b64 v[2:3], 2, v[2:3]
	s_cbranch_scc1 .LBB0_11
; %bb.7:
	v_mov_b32_e32 v1, s9
	v_add_co_u32_e32 v4, vcc, s8, v2
	v_addc_co_u32_e32 v5, vcc, v1, v3, vcc
	global_load_dword v1, v[4:5], off
	v_mov_b32_e32 v5, s11
	v_add_co_u32_e32 v4, vcc, s10, v2
	v_addc_co_u32_e32 v5, vcc, v5, v3, vcc
	global_load_dword v6, v[4:5], off
	s_cmp_lt_u32 s18, 4
	s_cbranch_scc1 .LBB0_12
; %bb.8:
	s_and_b32 s6, s18, 0x7ffffffc
	s_add_u32 s19, s14, 8
	s_addc_u32 s20, s15, 0
	s_add_u32 s21, s16, 8
	s_mov_b32 s7, 0
	v_lshl_add_u32 v8, v0, 2, 0
	s_addc_u32 s22, s17, 0
	v_mov_b32_e32 v7, 0
.LBB0_9:                                ; =>This Inner Loop Header: Depth=1
	ds_read2_b32 v[4:5], v8 offset1:1
	ds_read2_b32 v[10:11], v8 offset0:2 offset1:3
	s_add_u32 s0, s19, -8
	s_addc_u32 s1, s20, -1
	s_load_dwordx4 s[8:11], s[0:1], 0x0
	s_add_u32 s0, s21, -8
	s_addc_u32 s1, s22, -1
	s_waitcnt vmcnt(1) lgkmcnt(0)
	v_sub_f32_e32 v4, v4, v1
	s_load_dwordx4 s[24:27], s[0:1], 0x0
	v_sub_f32_e32 v9, v5, v1
	s_waitcnt vmcnt(0)
	v_div_scale_f32 v5, s[0:1], v6, v6, v4
	v_rcp_f32_e32 v19, v5
	v_sub_f32_e32 v14, v10, v1
	v_sub_f32_e32 v16, v11, v1
	v_div_scale_f32 v11, s[0:1], v6, v6, v9
	v_div_scale_f32 v13, s[2:3], v6, v6, v14
	v_rcp_f32_e32 v20, v11
	v_rcp_f32_e32 v21, v13
	v_fma_f32 v23, -v5, v19, 1.0
	v_div_scale_f32 v10, vcc, v4, v6, v4
	v_div_scale_f32 v17, s[4:5], v6, v6, v16
	v_fmac_f32_e32 v19, v23, v19
	v_rcp_f32_e32 v22, v17
	v_fma_f32 v24, -v11, v20, 1.0
	v_mul_f32_e32 v23, v10, v19
	v_div_scale_f32 v12, s[0:1], v9, v6, v9
	v_fma_f32 v25, -v13, v21, 1.0
	v_fmac_f32_e32 v20, v24, v20
	v_fma_f32 v27, -v5, v23, v10
	v_div_scale_f32 v15, s[2:3], v14, v6, v14
	v_fmac_f32_e32 v21, v25, v21
	v_mul_f32_e32 v24, v12, v20
	v_fmac_f32_e32 v23, v27, v19
	v_mul_f32_e32 v25, v15, v21
	v_fma_f32 v28, -v11, v24, v12
	v_fma_f32 v5, -v5, v23, v10
	v_fma_f32 v26, -v17, v22, 1.0
	v_fma_f32 v29, -v13, v25, v15
	v_fmac_f32_e32 v24, v28, v20
	v_div_fmas_f32 v5, v5, v19, v23
	v_div_scale_f32 v18, s[4:5], v16, v6, v16
	s_mov_b32 s29, s8
	s_waitcnt lgkmcnt(0)
	s_mov_b32 s28, s24
	v_fmac_f32_e32 v22, v26, v22
	v_fmac_f32_e32 v25, v29, v21
	v_fma_f32 v10, -v11, v24, v12
	v_div_fixup_f32 v4, v5, v6, v4
	s_mov_b64 vcc, s[0:1]
	v_mul_f32_e32 v26, v18, v22
	v_fma_f32 v11, -v13, v25, v15
	v_div_fmas_f32 v10, v10, v20, v24
	v_pk_add_f32 v[4:5], v[4:5], s[28:29] op_sel_hi:[0,1] neg_lo:[0,1] neg_hi:[0,1]
	s_mov_b64 vcc, s[2:3]
	v_fma_f32 v30, -v17, v26, v18
	v_div_fixup_f32 v10, v10, v6, v9
	v_div_fmas_f32 v9, v11, v21, v25
	v_cmp_gt_f32_e32 vcc, 0, v5
	s_mov_b32 s8, s25
	v_fmac_f32_e32 v26, v30, v22
	v_pk_mul_f32 v[12:13], v[4:5], v[4:5]
	v_cndmask_b32_e64 v5, 0, 1.0, vcc
	v_cmp_lt_f32_e32 vcc, 0, v4
	v_fma_f32 v15, -v17, v26, v18
	v_cndmask_b32_e64 v4, 0, 1.0, vcc
	v_pk_add_f32 v[10:11], v[10:11], s[8:9] op_sel_hi:[0,1] neg_lo:[0,1] neg_hi:[0,1]
	s_mov_b64 vcc, s[4:5]
	s_mov_b32 s31, s10
	s_mov_b32 s30, s26
	v_div_fixup_f32 v14, v9, v6, v14
	v_div_fmas_f32 v9, v15, v22, v26
	v_cmp_gt_f32_e32 vcc, 0, v11
	v_pk_mul_f32 v[4:5], v[12:13], v[4:5]
	v_pk_mul_f32 v[12:13], v[10:11], v[10:11]
	v_cndmask_b32_e64 v11, 0, 1.0, vcc
	v_cmp_lt_f32_e32 vcc, 0, v10
	v_pk_add_f32 v[14:15], v[14:15], s[30:31] op_sel_hi:[0,1] neg_lo:[0,1] neg_hi:[0,1]
	s_mov_b32 s10, s27
	v_cndmask_b32_e64 v10, 0, 1.0, vcc
	v_div_fixup_f32 v16, v9, v6, v16
	v_cmp_gt_f32_e32 vcc, 0, v15
	v_add_f32_e32 v9, v4, v5
	v_pk_mul_f32 v[4:5], v[12:13], v[10:11]
	v_pk_mul_f32 v[10:11], v[14:15], v[14:15]
	v_cndmask_b32_e64 v13, 0, 1.0, vcc
	v_cmp_lt_f32_e32 vcc, 0, v14
	v_pk_add_f32 v[14:15], v[16:17], s[10:11] op_sel_hi:[0,1] neg_lo:[0,1] neg_hi:[0,1]
	s_add_i32 s7, s7, 4
	v_cndmask_b32_e64 v12, 0, 1.0, vcc
	v_cmp_gt_f32_e32 vcc, 0, v15
	s_add_u32 s19, s19, 16
	v_add_f32_e32 v7, v7, v9
	v_add_f32_e32 v9, v4, v5
	v_pk_mul_f32 v[4:5], v[10:11], v[12:13]
	v_cndmask_b32_e64 v13, 0, 1.0, vcc
	v_cmp_lt_f32_e32 vcc, 0, v14
	s_addc_u32 s20, s20, 0
	v_pk_mul_f32 v[10:11], v[14:15], v[14:15]
	v_cndmask_b32_e64 v12, 0, 1.0, vcc
	s_add_u32 s21, s21, 16
	v_add_f32_e32 v7, v7, v9
	v_add_f32_e32 v9, v4, v5
	v_pk_mul_f32 v[4:5], v[10:11], v[12:13]
	s_addc_u32 s22, s22, 0
	v_add_f32_e32 v7, v7, v9
	v_add_f32_e32 v4, v4, v5
	v_add_u32_e32 v8, 16, v8
	s_cmp_eq_u32 s6, s7
	v_add_f32_e32 v7, v7, v4
	s_cbranch_scc0 .LBB0_9
; %bb.10:
	s_and_b32 s4, s18, 3
	s_cmp_eq_u32 s4, 0
	s_mov_b32 s7, 0
	s_cbranch_scc0 .LBB0_13
	s_branch .LBB0_15
.LBB0_11:
	v_mov_b32_e32 v7, 0
	s_branch .LBB0_15
.LBB0_12:
	s_mov_b32 s6, 0
	v_mov_b32_e32 v7, 0
	s_and_b32 s4, s18, 3
	s_cmp_eq_u32 s4, 0
	s_mov_b32 s7, 0
	s_cbranch_scc1 .LBB0_15
.LBB0_13:
	s_lshl_b64 s[2:3], s[6:7], 2
	s_add_u32 s0, s16, s2
	s_addc_u32 s1, s17, s3
	s_add_u32 s2, s14, s2
	v_add_u32_e32 v0, s6, v0
	s_addc_u32 s3, s15, s3
	v_lshl_add_u32 v0, v0, 2, 0
.LBB0_14:                               ; =>This Inner Loop Header: Depth=1
	ds_read_b32 v4, v0
	s_load_dword s7, s[2:3], 0x0
	s_load_dword s6, s[0:1], 0x0
	s_add_u32 s0, s0, 4
	s_addc_u32 s1, s1, 0
	s_add_u32 s2, s2, 4
	s_waitcnt vmcnt(1) lgkmcnt(0)
	v_sub_f32_e32 v4, v4, v1
	s_waitcnt vmcnt(0)
	v_div_scale_f32 v5, s[8:9], v6, v6, v4
	v_rcp_f32_e32 v9, v5
	v_div_scale_f32 v8, vcc, v4, v6, v4
	s_addc_u32 s3, s3, 0
	v_fma_f32 v10, -v5, v9, 1.0
	v_fmac_f32_e32 v9, v10, v9
	v_mul_f32_e32 v10, v8, v9
	v_fma_f32 v11, -v5, v10, v8
	v_fmac_f32_e32 v10, v11, v9
	v_fma_f32 v5, -v5, v10, v8
	v_div_fmas_f32 v5, v5, v9, v10
	v_div_fixup_f32 v4, v5, v6, v4
	v_pk_add_f32 v[4:5], v[4:5], s[6:7] op_sel_hi:[0,1] neg_lo:[0,1] neg_hi:[0,1]
	v_cmp_gt_f32_e32 vcc, 0, v5
	v_pk_mul_f32 v[8:9], v[4:5], v[4:5]
	v_cndmask_b32_e64 v5, 0, 1.0, vcc
	v_cmp_lt_f32_e32 vcc, 0, v4
	v_cndmask_b32_e64 v4, 0, 1.0, vcc
	v_pk_mul_f32 v[4:5], v[8:9], v[4:5]
	s_add_i32 s4, s4, -1
	v_add_f32_e32 v4, v4, v5
	v_add_u32_e32 v0, 4, v0
	s_cmp_lg_u32 s4, 0
	v_add_f32_e32 v7, v7, v4
	s_cbranch_scc1 .LBB0_14
.LBB0_15:
	s_waitcnt vmcnt(1)
	v_mov_b32_e32 v1, s13
	v_add_co_u32_e32 v0, vcc, s12, v2
	v_addc_co_u32_e32 v1, vcc, v1, v3, vcc
	global_store_dword v[0:1], v7, off
.LBB0_16:
	s_endpgm
	.section	.rodata,"a",@progbits
	.p2align	6, 0x0
	.amdhsa_kernel _Z8lb_keoghPKfS0_S0_PfS0_S0_ii
		.amdhsa_group_segment_fixed_size 0
		.amdhsa_private_segment_fixed_size 0
		.amdhsa_kernarg_size 312
		.amdhsa_user_sgpr_count 6
		.amdhsa_user_sgpr_private_segment_buffer 1
		.amdhsa_user_sgpr_dispatch_ptr 0
		.amdhsa_user_sgpr_queue_ptr 0
		.amdhsa_user_sgpr_kernarg_segment_ptr 1
		.amdhsa_user_sgpr_dispatch_id 0
		.amdhsa_user_sgpr_flat_scratch_init 0
		.amdhsa_user_sgpr_kernarg_preload_length 0
		.amdhsa_user_sgpr_kernarg_preload_offset 0
		.amdhsa_user_sgpr_private_segment_size 0
		.amdhsa_uses_dynamic_stack 0
		.amdhsa_system_sgpr_private_segment_wavefront_offset 0
		.amdhsa_system_sgpr_workgroup_id_x 1
		.amdhsa_system_sgpr_workgroup_id_y 0
		.amdhsa_system_sgpr_workgroup_id_z 0
		.amdhsa_system_sgpr_workgroup_info 0
		.amdhsa_system_vgpr_workitem_id 0
		.amdhsa_next_free_vgpr 31
		.amdhsa_next_free_sgpr 32
		.amdhsa_accum_offset 32
		.amdhsa_reserve_vcc 1
		.amdhsa_reserve_flat_scratch 0
		.amdhsa_float_round_mode_32 0
		.amdhsa_float_round_mode_16_64 0
		.amdhsa_float_denorm_mode_32 3
		.amdhsa_float_denorm_mode_16_64 3
		.amdhsa_dx10_clamp 1
		.amdhsa_ieee_mode 1
		.amdhsa_fp16_overflow 0
		.amdhsa_tg_split 0
		.amdhsa_exception_fp_ieee_invalid_op 0
		.amdhsa_exception_fp_denorm_src 0
		.amdhsa_exception_fp_ieee_div_zero 0
		.amdhsa_exception_fp_ieee_overflow 0
		.amdhsa_exception_fp_ieee_underflow 0
		.amdhsa_exception_fp_ieee_inexact 0
		.amdhsa_exception_int_div_zero 0
	.end_amdhsa_kernel
	.text
.Lfunc_end0:
	.size	_Z8lb_keoghPKfS0_S0_PfS0_S0_ii, .Lfunc_end0-_Z8lb_keoghPKfS0_S0_PfS0_S0_ii
                                        ; -- End function
	.section	.AMDGPU.csdata,"",@progbits
; Kernel info:
; codeLenInByte = 1288
; NumSgprs: 36
; NumVgprs: 31
; NumAgprs: 0
; TotalNumVgprs: 31
; ScratchSize: 0
; MemoryBound: 0
; FloatMode: 240
; IeeeMode: 1
; LDSByteSize: 0 bytes/workgroup (compile time only)
; SGPRBlocks: 4
; VGPRBlocks: 3
; NumSGPRsForWavesPerEU: 36
; NumVGPRsForWavesPerEU: 31
; AccumOffset: 32
; Occupancy: 8
; WaveLimiterHint : 0
; COMPUTE_PGM_RSRC2:SCRATCH_EN: 0
; COMPUTE_PGM_RSRC2:USER_SGPR: 6
; COMPUTE_PGM_RSRC2:TRAP_HANDLER: 0
; COMPUTE_PGM_RSRC2:TGID_X_EN: 1
; COMPUTE_PGM_RSRC2:TGID_Y_EN: 0
; COMPUTE_PGM_RSRC2:TGID_Z_EN: 0
; COMPUTE_PGM_RSRC2:TIDIG_COMP_CNT: 0
; COMPUTE_PGM_RSRC3_GFX90A:ACCUM_OFFSET: 7
; COMPUTE_PGM_RSRC3_GFX90A:TG_SPLIT: 0
	.text
	.p2alignl 6, 3212836864
	.fill 256, 4, 3212836864
	.type	__hip_cuid_bc0d5cba9d72cedd,@object ; @__hip_cuid_bc0d5cba9d72cedd
	.section	.bss,"aw",@nobits
	.globl	__hip_cuid_bc0d5cba9d72cedd
__hip_cuid_bc0d5cba9d72cedd:
	.byte	0                               ; 0x0
	.size	__hip_cuid_bc0d5cba9d72cedd, 1

	.ident	"AMD clang version 19.0.0git (https://github.com/RadeonOpenCompute/llvm-project roc-6.4.0 25133 c7fe45cf4b819c5991fe208aaa96edf142730f1d)"
	.section	".note.GNU-stack","",@progbits
	.addrsig
	.addrsig_sym __hip_cuid_bc0d5cba9d72cedd
	.amdgpu_metadata
---
amdhsa.kernels:
  - .agpr_count:     0
    .args:
      - .actual_access:  read_only
        .address_space:  global
        .offset:         0
        .size:           8
        .value_kind:     global_buffer
      - .actual_access:  read_only
        .address_space:  global
        .offset:         8
        .size:           8
        .value_kind:     global_buffer
      - .actual_access:  read_only
        .address_space:  global
        .offset:         16
        .size:           8
        .value_kind:     global_buffer
      - .actual_access:  write_only
        .address_space:  global
        .offset:         24
        .size:           8
        .value_kind:     global_buffer
      - .actual_access:  read_only
        .address_space:  global
        .offset:         32
        .size:           8
        .value_kind:     global_buffer
      - .actual_access:  read_only
        .address_space:  global
        .offset:         40
        .size:           8
        .value_kind:     global_buffer
      - .offset:         48
        .size:           4
        .value_kind:     by_value
      - .offset:         52
        .size:           4
        .value_kind:     by_value
      - .offset:         56
        .size:           4
        .value_kind:     hidden_block_count_x
      - .offset:         60
        .size:           4
        .value_kind:     hidden_block_count_y
      - .offset:         64
        .size:           4
        .value_kind:     hidden_block_count_z
      - .offset:         68
        .size:           2
        .value_kind:     hidden_group_size_x
      - .offset:         70
        .size:           2
        .value_kind:     hidden_group_size_y
      - .offset:         72
        .size:           2
        .value_kind:     hidden_group_size_z
      - .offset:         74
        .size:           2
        .value_kind:     hidden_remainder_x
      - .offset:         76
        .size:           2
        .value_kind:     hidden_remainder_y
      - .offset:         78
        .size:           2
        .value_kind:     hidden_remainder_z
      - .offset:         96
        .size:           8
        .value_kind:     hidden_global_offset_x
      - .offset:         104
        .size:           8
        .value_kind:     hidden_global_offset_y
      - .offset:         112
        .size:           8
        .value_kind:     hidden_global_offset_z
      - .offset:         120
        .size:           2
        .value_kind:     hidden_grid_dims
      - .offset:         176
        .size:           4
        .value_kind:     hidden_dynamic_lds_size
    .group_segment_fixed_size: 0
    .kernarg_segment_align: 8
    .kernarg_segment_size: 312
    .language:       OpenCL C
    .language_version:
      - 2
      - 0
    .max_flat_workgroup_size: 1024
    .name:           _Z8lb_keoghPKfS0_S0_PfS0_S0_ii
    .private_segment_fixed_size: 0
    .sgpr_count:     36
    .sgpr_spill_count: 0
    .symbol:         _Z8lb_keoghPKfS0_S0_PfS0_S0_ii.kd
    .uniform_work_group_size: 1
    .uses_dynamic_stack: false
    .vgpr_count:     31
    .vgpr_spill_count: 0
    .wavefront_size: 64
amdhsa.target:   amdgcn-amd-amdhsa--gfx90a
amdhsa.version:
  - 1
  - 2
...

	.end_amdgpu_metadata
